;; amdgpu-corpus repo=ROCm/rocFFT kind=compiled arch=gfx1030 opt=O3
	.text
	.amdgcn_target "amdgcn-amd-amdhsa--gfx1030"
	.amdhsa_code_object_version 6
	.protected	bluestein_single_back_len14_dim1_sp_op_CI_CI ; -- Begin function bluestein_single_back_len14_dim1_sp_op_CI_CI
	.globl	bluestein_single_back_len14_dim1_sp_op_CI_CI
	.p2align	8
	.type	bluestein_single_back_len14_dim1_sp_op_CI_CI,@function
bluestein_single_back_len14_dim1_sp_op_CI_CI: ; @bluestein_single_back_len14_dim1_sp_op_CI_CI
; %bb.0:
	s_load_dwordx4 s[0:3], s[4:5], 0x28
	v_mul_u32_u24_e32 v1, 0x2493, v0
	v_lshrrev_b32_e32 v1, 16, v1
	v_mad_u64_u32 v[12:13], null, s6, 18, v[1:2]
	v_mov_b32_e32 v13, 0
	s_waitcnt lgkmcnt(0)
	v_cmp_gt_u64_e32 vcc_lo, s[0:1], v[12:13]
	s_and_saveexec_b32 s0, vcc_lo
	s_cbranch_execz .LBB0_15
; %bb.1:
	v_mul_hi_u32 v2, 0x38e38e39, v12
	v_mul_lo_u16 v1, v1, 7
	s_clause 0x1
	s_load_dwordx2 s[12:13], s[4:5], 0x0
	s_load_dwordx2 s[6:7], s[4:5], 0x38
	v_sub_nc_u16 v0, v0, v1
	v_lshrrev_b32_e32 v2, 2, v2
	v_and_b32_e32 v17, 0xffff, v0
	v_cmp_gt_u16_e32 vcc_lo, 2, v0
	v_mul_lo_u32 v2, v2, 18
	v_lshlrev_b32_e32 v25, 3, v17
	v_or_b32_e32 v20, 2, v17
	v_or_b32_e32 v21, 4, v17
	;; [unrolled: 1-line block ×4, first 2 shown]
	v_sub_nc_u32_e32 v1, v12, v2
	v_or_b32_e32 v19, 10, v17
	v_or_b32_e32 v23, 12, v17
	v_mul_u32_u24_e32 v24, 14, v1
	v_or_b32_e32 v0, v24, v17
	v_lshlrev_b32_e32 v26, 3, v0
	s_and_saveexec_b32 s1, vcc_lo
	s_cbranch_execz .LBB0_3
; %bb.2:
	s_load_dwordx2 s[8:9], s[4:5], 0x18
	s_waitcnt lgkmcnt(0)
	s_load_dwordx4 s[8:11], s[8:9], 0x0
	s_clause 0x3
	global_load_dwordx2 v[0:1], v25, s[12:13]
	global_load_dwordx2 v[2:3], v25, s[12:13] offset:16
	global_load_dwordx2 v[4:5], v25, s[12:13] offset:32
	global_load_dwordx2 v[6:7], v25, s[12:13] offset:48
	s_waitcnt lgkmcnt(0)
	v_mad_u64_u32 v[8:9], null, s10, v12, 0
	v_mad_u64_u32 v[10:11], null, s8, v17, 0
	;; [unrolled: 1-line block ×9, first 2 shown]
	v_mov_b32_e32 v9, v35
	v_mad_u64_u32 v[31:32], null, s8, v19, 0
	v_mad_u64_u32 v[33:34], null, s8, v23, 0
	;; [unrolled: 1-line block ×3, first 2 shown]
	v_mov_b32_e32 v11, v36
	v_lshlrev_b64 v[8:9], 3, v[8:9]
	v_mad_u64_u32 v[39:40], null, s9, v22, v[28:29]
	v_mov_b32_e32 v14, v37
	v_mad_u64_u32 v[40:41], null, s9, v18, v[30:31]
	v_mad_u64_u32 v[41:42], null, s9, v19, v[32:33]
	v_lshlrev_b64 v[10:11], 3, v[10:11]
	v_mad_u64_u32 v[42:43], null, s9, v23, v[34:35]
	v_mov_b32_e32 v16, v38
	v_add_co_u32 v35, s0, s2, v8
	v_lshlrev_b64 v[13:14], 3, v[13:14]
	v_add_co_ci_u32_e64 v36, s0, s3, v9, s0
	v_mov_b32_e32 v28, v39
	v_lshlrev_b64 v[15:16], 3, v[15:16]
	v_add_co_u32 v10, s0, v35, v10
	v_mov_b32_e32 v30, v40
	v_add_co_ci_u32_e64 v11, s0, v36, v11, s0
	v_lshlrev_b64 v[8:9], 3, v[27:28]
	v_add_co_u32 v13, s0, v35, v13
	v_mov_b32_e32 v32, v41
	v_add_co_ci_u32_e64 v14, s0, v36, v14, s0
	v_add_co_u32 v15, s0, v35, v15
	v_lshlrev_b64 v[27:28], 3, v[29:30]
	v_mov_b32_e32 v34, v42
	v_add_co_ci_u32_e64 v16, s0, v36, v16, s0
	v_add_co_u32 v8, s0, v35, v8
	v_lshlrev_b64 v[29:30], 3, v[31:32]
	v_add_co_ci_u32_e64 v9, s0, v36, v9, s0
	v_add_co_u32 v27, s0, v35, v27
	v_lshlrev_b64 v[33:34], 3, v[33:34]
	v_add_co_ci_u32_e64 v28, s0, v36, v28, s0
	v_add_co_u32 v29, s0, v35, v29
	v_add_co_ci_u32_e64 v30, s0, v36, v30, s0
	v_add_co_u32 v33, s0, v35, v33
	s_clause 0x3
	global_load_dwordx2 v[10:11], v[10:11], off
	global_load_dwordx2 v[13:14], v[13:14], off
	;; [unrolled: 1-line block ×4, first 2 shown]
	global_load_dwordx2 v[31:32], v25, s[12:13] offset:64
	v_add_co_ci_u32_e64 v34, s0, v36, v34, s0
	s_clause 0x1
	global_load_dwordx2 v[27:28], v[27:28], off
	global_load_dwordx2 v[29:30], v[29:30], off
	s_clause 0x1
	global_load_dwordx2 v[35:36], v25, s[12:13] offset:80
	global_load_dwordx2 v[37:38], v25, s[12:13] offset:96
	global_load_dwordx2 v[33:34], v[33:34], off
	v_lshl_add_u32 v43, v24, 3, v25
	s_waitcnt vmcnt(9)
	v_mul_f32_e32 v39, v11, v1
	v_mul_f32_e32 v40, v10, v1
	s_waitcnt vmcnt(8)
	v_mul_f32_e32 v1, v14, v3
	v_mul_f32_e32 v42, v13, v3
	;; [unrolled: 3-line block ×6, first 2 shown]
	v_fma_f32 v40, v11, v0, -v40
	s_waitcnt vmcnt(0)
	v_mul_f32_e32 v32, v34, v38
	v_fmac_f32_e32 v39, v10, v0
	v_mul_f32_e32 v0, v33, v38
	v_fmac_f32_e32 v1, v13, v2
	v_fma_f32 v2, v14, v2, -v42
	v_fmac_f32_e32 v3, v15, v4
	v_fma_f32 v4, v16, v4, -v44
	;; [unrolled: 2-line block ×6, first 2 shown]
	ds_write_b64 v26, v[39:40]
	ds_write2_b64 v43, v[1:2], v[3:4] offset0:2 offset1:4
	ds_write2_b64 v43, v[5:6], v[7:8] offset0:6 offset1:8
	;; [unrolled: 1-line block ×3, first 2 shown]
.LBB0_3:
	s_or_b32 exec_lo, exec_lo, s1
	s_clause 0x1
	s_load_dwordx2 s[0:1], s[4:5], 0x20
	s_load_dwordx2 s[4:5], s[4:5], 0x8
	v_mov_b32_e32 v0, 0
	v_mov_b32_e32 v1, 0
	v_lshlrev_b32_e32 v27, 3, v24
	s_waitcnt lgkmcnt(0)
	s_barrier
	buffer_gl0_inv
	v_mov_b32_e32 v3, v1
	v_mov_b32_e32 v7, v1
	;; [unrolled: 1-line block ×6, first 2 shown]
                                        ; implicit-def: $vgpr11
	s_and_saveexec_b32 s2, vcc_lo
	s_cbranch_execz .LBB0_5
; %bb.4:
	v_lshl_add_u32 v8, v17, 3, v27
	ds_read_b64 v[13:14], v26
	ds_read2_b64 v[0:3], v8 offset0:2 offset1:4
	ds_read2_b64 v[4:7], v8 offset0:6 offset1:8
	;; [unrolled: 1-line block ×3, first 2 shown]
.LBB0_5:
	s_or_b32 exec_lo, exec_lo, s2
	s_waitcnt lgkmcnt(0)
	v_add_f32_e32 v15, v10, v0
	v_add_f32_e32 v16, v11, v1
	v_sub_f32_e32 v0, v0, v10
	v_sub_f32_e32 v1, v1, v11
	v_add_f32_e32 v10, v8, v2
	v_add_f32_e32 v11, v9, v3
	v_sub_f32_e32 v2, v2, v8
	v_sub_f32_e32 v3, v3, v9
	v_add_f32_e32 v8, v4, v6
	v_add_f32_e32 v9, v5, v7
	v_sub_f32_e32 v4, v6, v4
	v_sub_f32_e32 v5, v7, v5
	v_add_f32_e32 v6, v15, v10
	v_add_f32_e32 v7, v16, v11
	v_sub_f32_e32 v28, v10, v15
	v_sub_f32_e32 v29, v11, v16
	v_sub_f32_e32 v15, v15, v8
	v_sub_f32_e32 v16, v16, v9
	;; [unrolled: 1-line block ×4, first 2 shown]
	v_add_f32_e32 v30, v2, v4
	v_add_f32_e32 v31, v3, v5
	v_sub_f32_e32 v32, v4, v2
	v_sub_f32_e32 v33, v5, v3
	;; [unrolled: 1-line block ×3, first 2 shown]
	v_add_f32_e32 v6, v6, v8
	v_add_f32_e32 v7, v7, v9
	v_sub_f32_e32 v3, v3, v1
	v_sub_f32_e32 v34, v0, v4
	;; [unrolled: 1-line block ×3, first 2 shown]
	v_add_f32_e32 v0, v0, v30
	v_add_f32_e32 v1, v1, v31
	v_add_f32_e32 v4, v6, v13
	v_add_f32_e32 v5, v7, v14
	v_mul_f32_e32 v8, 0x3f4a47b2, v15
	v_mul_f32_e32 v9, 0x3f4a47b2, v16
	v_mul_f32_e32 v10, 0x3d64c772, v10
	v_mul_f32_e32 v11, 0x3d64c772, v11
	v_mul_f32_e32 v13, 0xbf08b237, v32
	v_mul_f32_e32 v14, 0xbf08b237, v33
	v_mul_f32_e32 v30, 0x3f5ff5aa, v2
	v_mul_f32_e32 v31, 0x3f5ff5aa, v3
	v_fmamk_f32 v6, v6, 0xbf955555, v4
	v_fmamk_f32 v7, v7, 0xbf955555, v5
	;; [unrolled: 1-line block ×4, first 2 shown]
	v_fma_f32 v10, 0x3f3bfb3b, v28, -v10
	v_fma_f32 v11, 0x3f3bfb3b, v29, -v11
	;; [unrolled: 1-line block ×4, first 2 shown]
	v_fmamk_f32 v8, v34, 0x3eae86e6, v13
	v_fmamk_f32 v9, v35, 0x3eae86e6, v14
	v_fma_f32 v2, 0x3f5ff5aa, v2, -v13
	v_fma_f32 v3, 0x3f5ff5aa, v3, -v14
	;; [unrolled: 1-line block ×4, first 2 shown]
	v_add_f32_e32 v15, v15, v6
	v_add_f32_e32 v16, v16, v7
	;; [unrolled: 1-line block ×6, first 2 shown]
	v_fmac_f32_e32 v8, 0x3ee1c552, v0
	v_fmac_f32_e32 v31, 0x3ee1c552, v1
	;; [unrolled: 1-line block ×6, first 2 shown]
	v_add_f32_e32 v6, v28, v31
	v_sub_f32_e32 v7, v29, v30
	v_sub_f32_e32 v13, v10, v3
	v_add_f32_e32 v14, v2, v11
	v_add_f32_e32 v10, v10, v3
	v_sub_f32_e32 v11, v11, v2
	v_sub_f32_e32 v0, v28, v31
	v_add_f32_e32 v1, v30, v29
	v_sub_f32_e32 v2, v15, v9
	v_add_f32_e32 v3, v8, v16
	v_mul_lo_u16 v28, v17, 7
	s_barrier
	buffer_gl0_inv
	s_and_saveexec_b32 s2, vcc_lo
	s_cbranch_execz .LBB0_7
; %bb.6:
	v_and_b32_e32 v29, 0xffff, v28
	v_sub_f32_e32 v16, v16, v8
	v_add_f32_e32 v15, v15, v9
	v_add_lshl_u32 v8, v24, v29, 3
	ds_write2_b64 v8, v[4:5], v[15:16] offset1:1
	ds_write2_b64 v8, v[6:7], v[13:14] offset0:2 offset1:3
	ds_write2_b64 v8, v[10:11], v[0:1] offset0:4 offset1:5
	ds_write_b64 v8, v[2:3] offset:48
.LBB0_7:
	s_or_b32 exec_lo, exec_lo, s2
	s_load_dwordx4 s[0:3], s[0:1], 0x0
	s_waitcnt lgkmcnt(0)
	s_barrier
	buffer_gl0_inv
	global_load_dwordx2 v[8:9], v25, s[4:5]
	v_add_lshl_u32 v30, v24, v17, 3
	v_lshl_add_u32 v29, v17, 3, v27
	ds_read2_b64 v[31:34], v30 offset1:7
	s_waitcnt vmcnt(0) lgkmcnt(0)
	v_mul_f32_e32 v4, v34, v9
	v_mul_f32_e32 v5, v33, v9
	v_fma_f32 v4, v33, v8, -v4
	v_fmac_f32_e32 v5, v34, v8
	v_sub_f32_e32 v4, v31, v4
	v_sub_f32_e32 v5, v32, v5
	v_fma_f32 v15, v31, 2.0, -v4
	v_fma_f32 v16, v32, 2.0, -v5
	ds_write2_b64 v29, v[15:16], v[4:5] offset1:7
	s_waitcnt lgkmcnt(0)
	s_barrier
	buffer_gl0_inv
	s_and_saveexec_b32 s4, vcc_lo
	s_cbranch_execz .LBB0_9
; %bb.8:
	global_load_dwordx2 v[31:32], v25, s[12:13] offset:112
	s_add_u32 s8, s12, 0x70
	s_addc_u32 s9, s13, 0
	s_clause 0x5
	global_load_dwordx2 v[43:44], v25, s[8:9] offset:16
	global_load_dwordx2 v[45:46], v25, s[8:9] offset:32
	;; [unrolled: 1-line block ×6, first 2 shown]
	ds_read_b64 v[33:34], v26
	s_waitcnt vmcnt(6) lgkmcnt(0)
	v_mul_f32_e32 v35, v34, v32
	v_mul_f32_e32 v36, v33, v32
	v_fma_f32 v35, v33, v31, -v35
	v_fmac_f32_e32 v36, v34, v31
	ds_write_b64 v26, v[35:36]
	ds_read2_b64 v[31:34], v29 offset0:2 offset1:4
	ds_read2_b64 v[35:38], v29 offset0:6 offset1:8
	;; [unrolled: 1-line block ×3, first 2 shown]
	s_waitcnt vmcnt(5) lgkmcnt(2)
	v_mul_f32_e32 v56, v32, v44
	v_mul_f32_e32 v55, v31, v44
	s_waitcnt vmcnt(4)
	v_mul_f32_e32 v57, v34, v46
	v_mul_f32_e32 v44, v33, v46
	s_waitcnt vmcnt(3) lgkmcnt(1)
	v_mul_f32_e32 v58, v36, v48
	v_mul_f32_e32 v46, v35, v48
	s_waitcnt vmcnt(2)
	v_mul_f32_e32 v59, v38, v50
	v_mul_f32_e32 v48, v37, v50
	;; [unrolled: 6-line block ×3, first 2 shown]
	v_fma_f32 v54, v31, v43, -v56
	v_fmac_f32_e32 v55, v32, v43
	v_fma_f32 v43, v33, v45, -v57
	v_fmac_f32_e32 v44, v34, v45
	;; [unrolled: 2-line block ×6, first 2 shown]
	ds_write2_b64 v29, v[54:55], v[43:44] offset0:2 offset1:4
	ds_write2_b64 v29, v[45:46], v[47:48] offset0:6 offset1:8
	;; [unrolled: 1-line block ×3, first 2 shown]
.LBB0_9:
	s_or_b32 exec_lo, exec_lo, s4
	s_waitcnt lgkmcnt(0)
	s_barrier
	buffer_gl0_inv
	s_and_saveexec_b32 s4, vcc_lo
	s_cbranch_execz .LBB0_11
; %bb.10:
	ds_read2_b64 v[4:7], v29 offset0:2 offset1:4
	ds_read2_b64 v[31:34], v29 offset0:6 offset1:8
	;; [unrolled: 1-line block ×3, first 2 shown]
	ds_read_b64 v[15:16], v26
	s_waitcnt lgkmcnt(2)
	v_mov_b32_e32 v11, v34
	v_mov_b32_e32 v10, v33
	;; [unrolled: 1-line block ×4, first 2 shown]
.LBB0_11:
	s_or_b32 exec_lo, exec_lo, s4
	s_waitcnt lgkmcnt(0)
	s_barrier
	buffer_gl0_inv
	s_and_saveexec_b32 s4, vcc_lo
	s_cbranch_execz .LBB0_13
; %bb.12:
	v_add_f32_e32 v34, v3, v5
	v_add_f32_e32 v37, v7, v1
	v_sub_f32_e32 v31, v10, v13
	v_sub_f32_e32 v32, v6, v0
	;; [unrolled: 1-line block ×3, first 2 shown]
	v_add_f32_e32 v35, v11, v14
	v_add_f32_e32 v38, v2, v4
	;; [unrolled: 1-line block ×3, first 2 shown]
	v_sub_f32_e32 v36, v31, v32
	v_add_f32_e32 v2, v32, v31
	v_add_f32_e32 v0, v6, v0
	v_sub_f32_e32 v39, v33, v31
	v_add_f32_e32 v4, v35, v4
	v_mul_f32_e32 v31, 0x3f08b237, v36
	v_add_f32_e32 v10, v10, v13
	v_sub_f32_e32 v13, v34, v35
	v_add_f32_e32 v36, v33, v2
	v_add_f32_e32 v2, v16, v4
	v_add_f32_e32 v16, v0, v38
	v_sub_f32_e32 v6, v35, v37
	v_mul_f32_e32 v13, 0x3f4a47b2, v13
	v_sub_f32_e32 v41, v38, v10
	v_fmamk_f32 v42, v4, 0xbf955555, v2
	v_add_f32_e32 v4, v10, v16
	v_mul_f32_e32 v35, 0x3d64c772, v6
	v_fmamk_f32 v6, v6, 0x3d64c772, v13
	v_sub_f32_e32 v11, v11, v14
	v_sub_f32_e32 v7, v7, v1
	v_mul_f32_e32 v14, 0x3f4a47b2, v41
	v_sub_f32_e32 v10, v10, v0
	v_add_f32_e32 v1, v15, v4
	v_sub_f32_e32 v3, v5, v3
	v_add_f32_e32 v15, v6, v42
	v_sub_f32_e32 v32, v32, v33
	v_fmamk_f32 v6, v10, 0x3d64c772, v14
	v_fmamk_f32 v16, v4, 0xbf955555, v1
	v_sub_f32_e32 v5, v11, v7
	v_sub_f32_e32 v41, v3, v11
	;; [unrolled: 1-line block ×4, first 2 shown]
	v_add_f32_e32 v33, v6, v16
	v_add_f32_e32 v6, v7, v11
	v_sub_f32_e32 v7, v7, v3
	v_mul_f32_e32 v11, 0xbf5ff5aa, v32
	v_mul_f32_e32 v5, 0x3f08b237, v5
	;; [unrolled: 1-line block ×3, first 2 shown]
	v_add_f32_e32 v3, v6, v3
	v_mul_f32_e32 v6, 0xbf5ff5aa, v7
	v_fma_f32 v37, 0x3eae86e6, v39, -v11
	v_fma_f32 v11, 0xbf3bfb3b, v34, -v13
	;; [unrolled: 1-line block ×3, first 2 shown]
	v_fmamk_f32 v40, v39, 0xbeae86e6, v31
	v_fmamk_f32 v43, v41, 0xbeae86e6, v5
	v_fma_f32 v38, 0x3eae86e6, v41, -v6
	v_fma_f32 v7, 0xbf5ff5aa, v7, -v5
	v_add_f32_e32 v41, v13, v16
	v_fma_f32 v6, 0x3f3bfb3b, v34, -v35
	v_fma_f32 v13, 0xbf5ff5aa, v32, -v31
	v_fma_f32 v0, 0x3f3bfb3b, v0, -v10
	v_fmac_f32_e32 v40, 0xbee1c552, v36
	v_fmac_f32_e32 v43, 0xbee1c552, v3
	;; [unrolled: 1-line block ×4, first 2 shown]
	v_and_b32_e32 v3, 0xffff, v28
	v_fmac_f32_e32 v37, 0xbee1c552, v36
	v_add_f32_e32 v39, v11, v42
	v_add_f32_e32 v10, v6, v42
	v_fmac_f32_e32 v13, 0xbee1c552, v36
	v_add_f32_e32 v0, v0, v16
	v_sub_f32_e32 v32, v15, v40
	v_add_f32_e32 v31, v33, v43
	v_lshl_add_u32 v27, v3, 3, v27
	v_add_f32_e32 v4, v40, v15
	v_sub_f32_e32 v11, v10, v13
	v_add_f32_e32 v14, v13, v10
	v_sub_f32_e32 v13, v0, v7
	v_sub_f32_e32 v16, v39, v37
	v_add_f32_e32 v15, v38, v41
	v_add_f32_e32 v6, v37, v39
	v_sub_f32_e32 v5, v41, v38
	v_add_f32_e32 v10, v7, v0
	v_sub_f32_e32 v3, v33, v43
	ds_write2_b64 v27, v[1:2], v[31:32] offset1:1
	ds_write2_b64 v27, v[15:16], v[13:14] offset0:2 offset1:3
	ds_write2_b64 v27, v[10:11], v[5:6] offset0:4 offset1:5
	ds_write_b64 v27, v[3:4] offset:48
.LBB0_13:
	s_or_b32 exec_lo, exec_lo, s4
	s_waitcnt lgkmcnt(0)
	s_barrier
	buffer_gl0_inv
	ds_read2_b64 v[0:3], v30 offset1:7
	s_waitcnt lgkmcnt(0)
	v_mul_f32_e32 v4, v9, v3
	v_mul_f32_e32 v5, v9, v2
	v_fmac_f32_e32 v4, v8, v2
	v_fma_f32 v3, v8, v3, -v5
	v_sub_f32_e32 v2, v0, v4
	v_sub_f32_e32 v3, v1, v3
	v_fma_f32 v0, v0, 2.0, -v2
	v_fma_f32 v1, v1, 2.0, -v3
	ds_write2_b64 v29, v[0:1], v[2:3] offset1:7
	s_waitcnt lgkmcnt(0)
	s_barrier
	buffer_gl0_inv
	s_and_b32 exec_lo, exec_lo, vcc_lo
	s_cbranch_execz .LBB0_15
; %bb.14:
	s_clause 0x6
	global_load_dwordx2 v[13:14], v25, s[12:13]
	global_load_dwordx2 v[15:16], v25, s[12:13] offset:16
	global_load_dwordx2 v[27:28], v25, s[12:13] offset:32
	;; [unrolled: 1-line block ×6, first 2 shown]
	v_mad_u64_u32 v[37:38], null, s2, v12, 0
	v_mad_u64_u32 v[41:42], null, s0, v17, 0
	ds_read_b64 v[39:40], v26
	v_lshl_add_u32 v26, v24, 3, v25
	v_mad_u64_u32 v[24:25], null, s0, v20, 0
	v_mad_u64_u32 v[43:44], null, s0, v21, 0
	;; [unrolled: 1-line block ×6, first 2 shown]
	v_mov_b32_e32 v8, v38
	v_mov_b32_e32 v9, v42
	;; [unrolled: 1-line block ×5, first 2 shown]
	ds_read2_b64 v[0:3], v26 offset0:2 offset1:4
	ds_read2_b64 v[4:7], v26 offset0:6 offset1:8
	v_mad_u64_u32 v[53:54], null, s3, v12, v[8:9]
	v_mov_b32_e32 v8, v48
	v_mad_u64_u32 v[54:55], null, s1, v17, v[9:10]
	v_mov_b32_e32 v9, v50
	;; [unrolled: 2-line block ×3, first 2 shown]
	v_mad_u64_u32 v[20:21], null, s1, v21, v[11:12]
	v_mad_u64_u32 v[21:22], null, s1, v22, v[25:26]
	;; [unrolled: 1-line block ×5, first 2 shown]
	ds_read2_b64 v[8:11], v26 offset0:10 offset1:12
	v_mov_b32_e32 v25, v55
	v_mov_b32_e32 v44, v20
	;; [unrolled: 1-line block ×6, first 2 shown]
	v_lshlrev_b64 v[21:22], 3, v[24:25]
	v_lshlrev_b64 v[23:24], 3, v[43:44]
	;; [unrolled: 1-line block ×3, first 2 shown]
	v_mov_b32_e32 v50, v18
	v_lshlrev_b64 v[17:18], 3, v[37:38]
	v_lshlrev_b64 v[37:38], 3, v[47:48]
	s_mov_b32 s4, 0x92492492
	s_mov_b32 s5, 0x3fb24924
	v_mov_b32_e32 v42, v54
	v_lshlrev_b64 v[19:20], 3, v[41:42]
	v_lshlrev_b64 v[41:42], 3, v[49:50]
	s_waitcnt vmcnt(6) lgkmcnt(3)
	v_mul_f32_e32 v12, v40, v14
	v_mul_f32_e32 v14, v39, v14
	s_waitcnt vmcnt(5) lgkmcnt(2)
	v_mul_f32_e32 v43, v1, v16
	v_mul_f32_e32 v16, v0, v16
	s_waitcnt vmcnt(4)
	v_mul_f32_e32 v44, v3, v28
	v_mul_f32_e32 v28, v2, v28
	s_waitcnt vmcnt(3) lgkmcnt(1)
	v_mul_f32_e32 v45, v5, v30
	v_mul_f32_e32 v30, v4, v30
	s_waitcnt vmcnt(2)
	v_mul_f32_e32 v46, v7, v32
	v_mul_f32_e32 v32, v6, v32
	s_waitcnt vmcnt(1) lgkmcnt(0)
	v_mul_f32_e32 v47, v9, v34
	v_mul_f32_e32 v34, v8, v34
	v_fmac_f32_e32 v12, v39, v13
	v_fma_f32 v13, v13, v40, -v14
	s_waitcnt vmcnt(0)
	v_mul_f32_e32 v48, v11, v36
	v_mul_f32_e32 v36, v10, v36
	v_fmac_f32_e32 v43, v0, v15
	v_fma_f32 v14, v15, v1, -v16
	v_fmac_f32_e32 v44, v2, v27
	v_fma_f32 v15, v27, v3, -v28
	;; [unrolled: 2-line block ×5, first 2 shown]
	v_cvt_f64_f32_e32 v[0:1], v12
	v_cvt_f64_f32_e32 v[2:3], v13
	v_fmac_f32_e32 v48, v10, v35
	v_fma_f32 v39, v35, v11, -v36
	v_cvt_f64_f32_e32 v[4:5], v43
	v_cvt_f64_f32_e32 v[6:7], v14
	v_cvt_f64_f32_e32 v[8:9], v44
	v_cvt_f64_f32_e32 v[10:11], v15
	v_cvt_f64_f32_e32 v[12:13], v45
	v_cvt_f64_f32_e32 v[14:15], v16
	v_cvt_f64_f32_e32 v[27:28], v46
	v_cvt_f64_f32_e32 v[29:30], v29
	v_cvt_f64_f32_e32 v[31:32], v47
	v_cvt_f64_f32_e32 v[33:34], v33
	v_cvt_f64_f32_e32 v[35:36], v48
	v_cvt_f64_f32_e32 v[39:40], v39
	v_add_co_u32 v43, vcc_lo, s6, v17
	v_add_co_ci_u32_e32 v44, vcc_lo, s7, v18, vcc_lo
	v_lshlrev_b64 v[16:17], 3, v[51:52]
	v_add_co_u32 v18, vcc_lo, v43, v19
	v_mul_f64 v[0:1], v[0:1], s[4:5]
	v_mul_f64 v[2:3], v[2:3], s[4:5]
	v_add_co_ci_u32_e32 v19, vcc_lo, v44, v20, vcc_lo
	v_mul_f64 v[4:5], v[4:5], s[4:5]
	v_mul_f64 v[6:7], v[6:7], s[4:5]
	;; [unrolled: 1-line block ×12, first 2 shown]
	v_add_co_u32 v20, vcc_lo, v43, v21
	v_add_co_ci_u32_e32 v21, vcc_lo, v44, v22, vcc_lo
	v_add_co_u32 v22, vcc_lo, v43, v23
	v_cvt_f32_f64_e32 v0, v[0:1]
	v_cvt_f32_f64_e32 v1, v[2:3]
	v_add_co_ci_u32_e32 v23, vcc_lo, v44, v24, vcc_lo
	v_cvt_f32_f64_e32 v2, v[4:5]
	v_cvt_f32_f64_e32 v3, v[6:7]
	;; [unrolled: 1-line block ×12, first 2 shown]
	v_add_co_u32 v14, vcc_lo, v43, v25
	v_add_co_ci_u32_e32 v15, vcc_lo, v44, v26, vcc_lo
	v_add_co_u32 v24, vcc_lo, v43, v37
	v_add_co_ci_u32_e32 v25, vcc_lo, v44, v38, vcc_lo
	;; [unrolled: 2-line block ×4, first 2 shown]
	global_store_dwordx2 v[18:19], v[0:1], off
	global_store_dwordx2 v[20:21], v[2:3], off
	;; [unrolled: 1-line block ×7, first 2 shown]
.LBB0_15:
	s_endpgm
	.section	.rodata,"a",@progbits
	.p2align	6, 0x0
	.amdhsa_kernel bluestein_single_back_len14_dim1_sp_op_CI_CI
		.amdhsa_group_segment_fixed_size 2016
		.amdhsa_private_segment_fixed_size 0
		.amdhsa_kernarg_size 104
		.amdhsa_user_sgpr_count 6
		.amdhsa_user_sgpr_private_segment_buffer 1
		.amdhsa_user_sgpr_dispatch_ptr 0
		.amdhsa_user_sgpr_queue_ptr 0
		.amdhsa_user_sgpr_kernarg_segment_ptr 1
		.amdhsa_user_sgpr_dispatch_id 0
		.amdhsa_user_sgpr_flat_scratch_init 0
		.amdhsa_user_sgpr_private_segment_size 0
		.amdhsa_wavefront_size32 1
		.amdhsa_uses_dynamic_stack 0
		.amdhsa_system_sgpr_private_segment_wavefront_offset 0
		.amdhsa_system_sgpr_workgroup_id_x 1
		.amdhsa_system_sgpr_workgroup_id_y 0
		.amdhsa_system_sgpr_workgroup_id_z 0
		.amdhsa_system_sgpr_workgroup_info 0
		.amdhsa_system_vgpr_workitem_id 0
		.amdhsa_next_free_vgpr 62
		.amdhsa_next_free_sgpr 14
		.amdhsa_reserve_vcc 1
		.amdhsa_reserve_flat_scratch 0
		.amdhsa_float_round_mode_32 0
		.amdhsa_float_round_mode_16_64 0
		.amdhsa_float_denorm_mode_32 3
		.amdhsa_float_denorm_mode_16_64 3
		.amdhsa_dx10_clamp 1
		.amdhsa_ieee_mode 1
		.amdhsa_fp16_overflow 0
		.amdhsa_workgroup_processor_mode 1
		.amdhsa_memory_ordered 1
		.amdhsa_forward_progress 0
		.amdhsa_shared_vgpr_count 0
		.amdhsa_exception_fp_ieee_invalid_op 0
		.amdhsa_exception_fp_denorm_src 0
		.amdhsa_exception_fp_ieee_div_zero 0
		.amdhsa_exception_fp_ieee_overflow 0
		.amdhsa_exception_fp_ieee_underflow 0
		.amdhsa_exception_fp_ieee_inexact 0
		.amdhsa_exception_int_div_zero 0
	.end_amdhsa_kernel
	.text
.Lfunc_end0:
	.size	bluestein_single_back_len14_dim1_sp_op_CI_CI, .Lfunc_end0-bluestein_single_back_len14_dim1_sp_op_CI_CI
                                        ; -- End function
	.section	.AMDGPU.csdata,"",@progbits
; Kernel info:
; codeLenInByte = 3648
; NumSgprs: 16
; NumVgprs: 62
; ScratchSize: 0
; MemoryBound: 0
; FloatMode: 240
; IeeeMode: 1
; LDSByteSize: 2016 bytes/workgroup (compile time only)
; SGPRBlocks: 1
; VGPRBlocks: 7
; NumSGPRsForWavesPerEU: 16
; NumVGPRsForWavesPerEU: 62
; Occupancy: 16
; WaveLimiterHint : 1
; COMPUTE_PGM_RSRC2:SCRATCH_EN: 0
; COMPUTE_PGM_RSRC2:USER_SGPR: 6
; COMPUTE_PGM_RSRC2:TRAP_HANDLER: 0
; COMPUTE_PGM_RSRC2:TGID_X_EN: 1
; COMPUTE_PGM_RSRC2:TGID_Y_EN: 0
; COMPUTE_PGM_RSRC2:TGID_Z_EN: 0
; COMPUTE_PGM_RSRC2:TIDIG_COMP_CNT: 0
	.text
	.p2alignl 6, 3214868480
	.fill 48, 4, 3214868480
	.type	__hip_cuid_a085668235adff27,@object ; @__hip_cuid_a085668235adff27
	.section	.bss,"aw",@nobits
	.globl	__hip_cuid_a085668235adff27
__hip_cuid_a085668235adff27:
	.byte	0                               ; 0x0
	.size	__hip_cuid_a085668235adff27, 1

	.ident	"AMD clang version 19.0.0git (https://github.com/RadeonOpenCompute/llvm-project roc-6.4.0 25133 c7fe45cf4b819c5991fe208aaa96edf142730f1d)"
	.section	".note.GNU-stack","",@progbits
	.addrsig
	.addrsig_sym __hip_cuid_a085668235adff27
	.amdgpu_metadata
---
amdhsa.kernels:
  - .args:
      - .actual_access:  read_only
        .address_space:  global
        .offset:         0
        .size:           8
        .value_kind:     global_buffer
      - .actual_access:  read_only
        .address_space:  global
        .offset:         8
        .size:           8
        .value_kind:     global_buffer
      - .actual_access:  read_only
        .address_space:  global
        .offset:         16
        .size:           8
        .value_kind:     global_buffer
      - .actual_access:  read_only
        .address_space:  global
        .offset:         24
        .size:           8
        .value_kind:     global_buffer
      - .actual_access:  read_only
        .address_space:  global
        .offset:         32
        .size:           8
        .value_kind:     global_buffer
      - .offset:         40
        .size:           8
        .value_kind:     by_value
      - .address_space:  global
        .offset:         48
        .size:           8
        .value_kind:     global_buffer
      - .address_space:  global
        .offset:         56
        .size:           8
        .value_kind:     global_buffer
      - .address_space:  global
        .offset:         64
        .size:           8
        .value_kind:     global_buffer
      - .address_space:  global
        .offset:         72
        .size:           8
        .value_kind:     global_buffer
      - .offset:         80
        .size:           4
        .value_kind:     by_value
      - .address_space:  global
        .offset:         88
        .size:           8
        .value_kind:     global_buffer
      - .address_space:  global
        .offset:         96
        .size:           8
        .value_kind:     global_buffer
    .group_segment_fixed_size: 2016
    .kernarg_segment_align: 8
    .kernarg_segment_size: 104
    .language:       OpenCL C
    .language_version:
      - 2
      - 0
    .max_flat_workgroup_size: 126
    .name:           bluestein_single_back_len14_dim1_sp_op_CI_CI
    .private_segment_fixed_size: 0
    .sgpr_count:     16
    .sgpr_spill_count: 0
    .symbol:         bluestein_single_back_len14_dim1_sp_op_CI_CI.kd
    .uniform_work_group_size: 1
    .uses_dynamic_stack: false
    .vgpr_count:     62
    .vgpr_spill_count: 0
    .wavefront_size: 32
    .workgroup_processor_mode: 1
amdhsa.target:   amdgcn-amd-amdhsa--gfx1030
amdhsa.version:
  - 1
  - 2
...

	.end_amdgpu_metadata
